;; amdgpu-corpus repo=ROCm/hip-tests kind=compiled arch=gfx1100 opt=O3
	.text
	.amdgcn_target "amdgcn-amd-amdhsa--gfx1100"
	.amdhsa_code_object_version 6
	.protected	_Z16kernel_abs_int64PxS_ ; -- Begin function _Z16kernel_abs_int64PxS_
	.globl	_Z16kernel_abs_int64PxS_
	.p2align	8
	.type	_Z16kernel_abs_int64PxS_,@function
_Z16kernel_abs_int64PxS_:               ; @_Z16kernel_abs_int64PxS_
; %bb.0:
	s_load_b128 s[0:3], s[0:1], 0x0
	v_lshlrev_b32_e32 v2, 3, v0
	s_waitcnt lgkmcnt(0)
	global_load_b64 v[0:1], v2, s[0:1]
	s_waitcnt vmcnt(0)
	v_ashrrev_i32_e32 v3, 31, v1
	s_delay_alu instid0(VALU_DEP_1) | instskip(SKIP_1) | instid1(VALU_DEP_2)
	v_xor_b32_e32 v0, v0, v3
	v_xor_b32_e32 v1, v1, v3
	v_sub_co_u32 v0, vcc_lo, v0, v3
	s_delay_alu instid0(VALU_DEP_2)
	v_sub_co_ci_u32_e32 v1, vcc_lo, v1, v3, vcc_lo
	global_store_b64 v2, v[0:1], s[2:3]
	s_nop 0
	s_sendmsg sendmsg(MSG_DEALLOC_VGPRS)
	s_endpgm
	.section	.rodata,"a",@progbits
	.p2align	6, 0x0
	.amdhsa_kernel _Z16kernel_abs_int64PxS_
		.amdhsa_group_segment_fixed_size 0
		.amdhsa_private_segment_fixed_size 0
		.amdhsa_kernarg_size 16
		.amdhsa_user_sgpr_count 15
		.amdhsa_user_sgpr_dispatch_ptr 0
		.amdhsa_user_sgpr_queue_ptr 0
		.amdhsa_user_sgpr_kernarg_segment_ptr 1
		.amdhsa_user_sgpr_dispatch_id 0
		.amdhsa_user_sgpr_private_segment_size 0
		.amdhsa_wavefront_size32 1
		.amdhsa_uses_dynamic_stack 0
		.amdhsa_enable_private_segment 0
		.amdhsa_system_sgpr_workgroup_id_x 1
		.amdhsa_system_sgpr_workgroup_id_y 0
		.amdhsa_system_sgpr_workgroup_id_z 0
		.amdhsa_system_sgpr_workgroup_info 0
		.amdhsa_system_vgpr_workitem_id 0
		.amdhsa_next_free_vgpr 4
		.amdhsa_next_free_sgpr 4
		.amdhsa_reserve_vcc 1
		.amdhsa_float_round_mode_32 0
		.amdhsa_float_round_mode_16_64 0
		.amdhsa_float_denorm_mode_32 3
		.amdhsa_float_denorm_mode_16_64 3
		.amdhsa_dx10_clamp 1
		.amdhsa_ieee_mode 1
		.amdhsa_fp16_overflow 0
		.amdhsa_workgroup_processor_mode 1
		.amdhsa_memory_ordered 1
		.amdhsa_forward_progress 0
		.amdhsa_shared_vgpr_count 0
		.amdhsa_exception_fp_ieee_invalid_op 0
		.amdhsa_exception_fp_denorm_src 0
		.amdhsa_exception_fp_ieee_div_zero 0
		.amdhsa_exception_fp_ieee_overflow 0
		.amdhsa_exception_fp_ieee_underflow 0
		.amdhsa_exception_fp_ieee_inexact 0
		.amdhsa_exception_int_div_zero 0
	.end_amdhsa_kernel
	.text
.Lfunc_end0:
	.size	_Z16kernel_abs_int64PxS_, .Lfunc_end0-_Z16kernel_abs_int64PxS_
                                        ; -- End function
	.section	.AMDGPU.csdata,"",@progbits
; Kernel info:
; codeLenInByte = 80
; NumSgprs: 6
; NumVgprs: 4
; ScratchSize: 0
; MemoryBound: 0
; FloatMode: 240
; IeeeMode: 1
; LDSByteSize: 0 bytes/workgroup (compile time only)
; SGPRBlocks: 0
; VGPRBlocks: 0
; NumSGPRsForWavesPerEU: 6
; NumVGPRsForWavesPerEU: 4
; Occupancy: 16
; WaveLimiterHint : 0
; COMPUTE_PGM_RSRC2:SCRATCH_EN: 0
; COMPUTE_PGM_RSRC2:USER_SGPR: 15
; COMPUTE_PGM_RSRC2:TRAP_HANDLER: 0
; COMPUTE_PGM_RSRC2:TGID_X_EN: 1
; COMPUTE_PGM_RSRC2:TGID_Y_EN: 0
; COMPUTE_PGM_RSRC2:TGID_Z_EN: 0
; COMPUTE_PGM_RSRC2:TIDIG_COMP_CNT: 0
	.section	.text._Z13kernel_simpleIfZL23CATCH2_INTERNAL_TEST_45vEUlvE_EvT0_PT_,"axG",@progbits,_Z13kernel_simpleIfZL23CATCH2_INTERNAL_TEST_45vEUlvE_EvT0_PT_,comdat
	.globl	_Z13kernel_simpleIfZL23CATCH2_INTERNAL_TEST_45vEUlvE_EvT0_PT_ ; -- Begin function _Z13kernel_simpleIfZL23CATCH2_INTERNAL_TEST_45vEUlvE_EvT0_PT_
	.p2align	8
	.type	_Z13kernel_simpleIfZL23CATCH2_INTERNAL_TEST_45vEUlvE_EvT0_PT_,@function
_Z13kernel_simpleIfZL23CATCH2_INTERNAL_TEST_45vEUlvE_EvT0_PT_: ; @_Z13kernel_simpleIfZL23CATCH2_INTERNAL_TEST_45vEUlvE_EvT0_PT_
; %bb.0:
	s_load_b64 s[0:1], s[0:1], 0x8
	v_dual_mov_b32 v0, 0 :: v_dual_mov_b32 v1, 4.0
	s_waitcnt lgkmcnt(0)
	global_store_b32 v0, v1, s[0:1]
	s_nop 0
	s_sendmsg sendmsg(MSG_DEALLOC_VGPRS)
	s_endpgm
	.section	.rodata,"a",@progbits
	.p2align	6, 0x0
	.amdhsa_kernel _Z13kernel_simpleIfZL23CATCH2_INTERNAL_TEST_45vEUlvE_EvT0_PT_
		.amdhsa_group_segment_fixed_size 0
		.amdhsa_private_segment_fixed_size 0
		.amdhsa_kernarg_size 16
		.amdhsa_user_sgpr_count 15
		.amdhsa_user_sgpr_dispatch_ptr 0
		.amdhsa_user_sgpr_queue_ptr 0
		.amdhsa_user_sgpr_kernarg_segment_ptr 1
		.amdhsa_user_sgpr_dispatch_id 0
		.amdhsa_user_sgpr_private_segment_size 0
		.amdhsa_wavefront_size32 1
		.amdhsa_uses_dynamic_stack 0
		.amdhsa_enable_private_segment 0
		.amdhsa_system_sgpr_workgroup_id_x 1
		.amdhsa_system_sgpr_workgroup_id_y 0
		.amdhsa_system_sgpr_workgroup_id_z 0
		.amdhsa_system_sgpr_workgroup_info 0
		.amdhsa_system_vgpr_workitem_id 0
		.amdhsa_next_free_vgpr 2
		.amdhsa_next_free_sgpr 2
		.amdhsa_reserve_vcc 0
		.amdhsa_float_round_mode_32 0
		.amdhsa_float_round_mode_16_64 0
		.amdhsa_float_denorm_mode_32 3
		.amdhsa_float_denorm_mode_16_64 3
		.amdhsa_dx10_clamp 1
		.amdhsa_ieee_mode 1
		.amdhsa_fp16_overflow 0
		.amdhsa_workgroup_processor_mode 1
		.amdhsa_memory_ordered 1
		.amdhsa_forward_progress 0
		.amdhsa_shared_vgpr_count 0
		.amdhsa_exception_fp_ieee_invalid_op 0
		.amdhsa_exception_fp_denorm_src 0
		.amdhsa_exception_fp_ieee_div_zero 0
		.amdhsa_exception_fp_ieee_overflow 0
		.amdhsa_exception_fp_ieee_underflow 0
		.amdhsa_exception_fp_ieee_inexact 0
		.amdhsa_exception_int_div_zero 0
	.end_amdhsa_kernel
	.section	.text._Z13kernel_simpleIfZL23CATCH2_INTERNAL_TEST_45vEUlvE_EvT0_PT_,"axG",@progbits,_Z13kernel_simpleIfZL23CATCH2_INTERNAL_TEST_45vEUlvE_EvT0_PT_,comdat
.Lfunc_end1:
	.size	_Z13kernel_simpleIfZL23CATCH2_INTERNAL_TEST_45vEUlvE_EvT0_PT_, .Lfunc_end1-_Z13kernel_simpleIfZL23CATCH2_INTERNAL_TEST_45vEUlvE_EvT0_PT_
                                        ; -- End function
	.section	.AMDGPU.csdata,"",@progbits
; Kernel info:
; codeLenInByte = 40
; NumSgprs: 2
; NumVgprs: 2
; ScratchSize: 0
; MemoryBound: 0
; FloatMode: 240
; IeeeMode: 1
; LDSByteSize: 0 bytes/workgroup (compile time only)
; SGPRBlocks: 0
; VGPRBlocks: 0
; NumSGPRsForWavesPerEU: 2
; NumVGPRsForWavesPerEU: 2
; Occupancy: 16
; WaveLimiterHint : 0
; COMPUTE_PGM_RSRC2:SCRATCH_EN: 0
; COMPUTE_PGM_RSRC2:USER_SGPR: 15
; COMPUTE_PGM_RSRC2:TRAP_HANDLER: 0
; COMPUTE_PGM_RSRC2:TGID_X_EN: 1
; COMPUTE_PGM_RSRC2:TGID_Y_EN: 0
; COMPUTE_PGM_RSRC2:TGID_Z_EN: 0
; COMPUTE_PGM_RSRC2:TIDIG_COMP_CNT: 0
	.section	.text._Z13kernel_simpleIdZL23CATCH2_INTERNAL_TEST_45vEUlvE0_EvT0_PT_,"axG",@progbits,_Z13kernel_simpleIdZL23CATCH2_INTERNAL_TEST_45vEUlvE0_EvT0_PT_,comdat
	.globl	_Z13kernel_simpleIdZL23CATCH2_INTERNAL_TEST_45vEUlvE0_EvT0_PT_ ; -- Begin function _Z13kernel_simpleIdZL23CATCH2_INTERNAL_TEST_45vEUlvE0_EvT0_PT_
	.p2align	8
	.type	_Z13kernel_simpleIdZL23CATCH2_INTERNAL_TEST_45vEUlvE0_EvT0_PT_,@function
_Z13kernel_simpleIdZL23CATCH2_INTERNAL_TEST_45vEUlvE0_EvT0_PT_: ; @_Z13kernel_simpleIdZL23CATCH2_INTERNAL_TEST_45vEUlvE0_EvT0_PT_
; %bb.0:
	s_load_b64 s[0:1], s[0:1], 0x8
	v_dual_mov_b32 v0, 0 :: v_dual_mov_b32 v1, 0x40100000
	s_waitcnt lgkmcnt(0)
	global_store_b64 v0, v[0:1], s[0:1]
	s_nop 0
	s_sendmsg sendmsg(MSG_DEALLOC_VGPRS)
	s_endpgm
	.section	.rodata,"a",@progbits
	.p2align	6, 0x0
	.amdhsa_kernel _Z13kernel_simpleIdZL23CATCH2_INTERNAL_TEST_45vEUlvE0_EvT0_PT_
		.amdhsa_group_segment_fixed_size 0
		.amdhsa_private_segment_fixed_size 0
		.amdhsa_kernarg_size 16
		.amdhsa_user_sgpr_count 15
		.amdhsa_user_sgpr_dispatch_ptr 0
		.amdhsa_user_sgpr_queue_ptr 0
		.amdhsa_user_sgpr_kernarg_segment_ptr 1
		.amdhsa_user_sgpr_dispatch_id 0
		.amdhsa_user_sgpr_private_segment_size 0
		.amdhsa_wavefront_size32 1
		.amdhsa_uses_dynamic_stack 0
		.amdhsa_enable_private_segment 0
		.amdhsa_system_sgpr_workgroup_id_x 1
		.amdhsa_system_sgpr_workgroup_id_y 0
		.amdhsa_system_sgpr_workgroup_id_z 0
		.amdhsa_system_sgpr_workgroup_info 0
		.amdhsa_system_vgpr_workitem_id 0
		.amdhsa_next_free_vgpr 2
		.amdhsa_next_free_sgpr 2
		.amdhsa_reserve_vcc 0
		.amdhsa_float_round_mode_32 0
		.amdhsa_float_round_mode_16_64 0
		.amdhsa_float_denorm_mode_32 3
		.amdhsa_float_denorm_mode_16_64 3
		.amdhsa_dx10_clamp 1
		.amdhsa_ieee_mode 1
		.amdhsa_fp16_overflow 0
		.amdhsa_workgroup_processor_mode 1
		.amdhsa_memory_ordered 1
		.amdhsa_forward_progress 0
		.amdhsa_shared_vgpr_count 0
		.amdhsa_exception_fp_ieee_invalid_op 0
		.amdhsa_exception_fp_denorm_src 0
		.amdhsa_exception_fp_ieee_div_zero 0
		.amdhsa_exception_fp_ieee_overflow 0
		.amdhsa_exception_fp_ieee_underflow 0
		.amdhsa_exception_fp_ieee_inexact 0
		.amdhsa_exception_int_div_zero 0
	.end_amdhsa_kernel
	.section	.text._Z13kernel_simpleIdZL23CATCH2_INTERNAL_TEST_45vEUlvE0_EvT0_PT_,"axG",@progbits,_Z13kernel_simpleIdZL23CATCH2_INTERNAL_TEST_45vEUlvE0_EvT0_PT_,comdat
.Lfunc_end2:
	.size	_Z13kernel_simpleIdZL23CATCH2_INTERNAL_TEST_45vEUlvE0_EvT0_PT_, .Lfunc_end2-_Z13kernel_simpleIdZL23CATCH2_INTERNAL_TEST_45vEUlvE0_EvT0_PT_
                                        ; -- End function
	.section	.AMDGPU.csdata,"",@progbits
; Kernel info:
; codeLenInByte = 44
; NumSgprs: 2
; NumVgprs: 2
; ScratchSize: 0
; MemoryBound: 0
; FloatMode: 240
; IeeeMode: 1
; LDSByteSize: 0 bytes/workgroup (compile time only)
; SGPRBlocks: 0
; VGPRBlocks: 0
; NumSGPRsForWavesPerEU: 2
; NumVGPRsForWavesPerEU: 2
; Occupancy: 16
; WaveLimiterHint : 0
; COMPUTE_PGM_RSRC2:SCRATCH_EN: 0
; COMPUTE_PGM_RSRC2:USER_SGPR: 15
; COMPUTE_PGM_RSRC2:TRAP_HANDLER: 0
; COMPUTE_PGM_RSRC2:TGID_X_EN: 1
; COMPUTE_PGM_RSRC2:TGID_Y_EN: 0
; COMPUTE_PGM_RSRC2:TGID_Z_EN: 0
; COMPUTE_PGM_RSRC2:TIDIG_COMP_CNT: 0
	.section	.text._Z13kernel_simpleIfZL23CATCH2_INTERNAL_TEST_45vEUlvE1_EvT0_PT_,"axG",@progbits,_Z13kernel_simpleIfZL23CATCH2_INTERNAL_TEST_45vEUlvE1_EvT0_PT_,comdat
	.globl	_Z13kernel_simpleIfZL23CATCH2_INTERNAL_TEST_45vEUlvE1_EvT0_PT_ ; -- Begin function _Z13kernel_simpleIfZL23CATCH2_INTERNAL_TEST_45vEUlvE1_EvT0_PT_
	.p2align	8
	.type	_Z13kernel_simpleIfZL23CATCH2_INTERNAL_TEST_45vEUlvE1_EvT0_PT_,@function
_Z13kernel_simpleIfZL23CATCH2_INTERNAL_TEST_45vEUlvE1_EvT0_PT_: ; @_Z13kernel_simpleIfZL23CATCH2_INTERNAL_TEST_45vEUlvE1_EvT0_PT_
; %bb.0:
	s_load_b64 s[0:1], s[0:1], 0x8
	v_dual_mov_b32 v0, 0 :: v_dual_mov_b32 v1, 4.0
	s_waitcnt lgkmcnt(0)
	global_store_b32 v0, v1, s[0:1]
	s_nop 0
	s_sendmsg sendmsg(MSG_DEALLOC_VGPRS)
	s_endpgm
	.section	.rodata,"a",@progbits
	.p2align	6, 0x0
	.amdhsa_kernel _Z13kernel_simpleIfZL23CATCH2_INTERNAL_TEST_45vEUlvE1_EvT0_PT_
		.amdhsa_group_segment_fixed_size 0
		.amdhsa_private_segment_fixed_size 0
		.amdhsa_kernarg_size 16
		.amdhsa_user_sgpr_count 15
		.amdhsa_user_sgpr_dispatch_ptr 0
		.amdhsa_user_sgpr_queue_ptr 0
		.amdhsa_user_sgpr_kernarg_segment_ptr 1
		.amdhsa_user_sgpr_dispatch_id 0
		.amdhsa_user_sgpr_private_segment_size 0
		.amdhsa_wavefront_size32 1
		.amdhsa_uses_dynamic_stack 0
		.amdhsa_enable_private_segment 0
		.amdhsa_system_sgpr_workgroup_id_x 1
		.amdhsa_system_sgpr_workgroup_id_y 0
		.amdhsa_system_sgpr_workgroup_id_z 0
		.amdhsa_system_sgpr_workgroup_info 0
		.amdhsa_system_vgpr_workitem_id 0
		.amdhsa_next_free_vgpr 2
		.amdhsa_next_free_sgpr 2
		.amdhsa_reserve_vcc 0
		.amdhsa_float_round_mode_32 0
		.amdhsa_float_round_mode_16_64 0
		.amdhsa_float_denorm_mode_32 3
		.amdhsa_float_denorm_mode_16_64 3
		.amdhsa_dx10_clamp 1
		.amdhsa_ieee_mode 1
		.amdhsa_fp16_overflow 0
		.amdhsa_workgroup_processor_mode 1
		.amdhsa_memory_ordered 1
		.amdhsa_forward_progress 0
		.amdhsa_shared_vgpr_count 0
		.amdhsa_exception_fp_ieee_invalid_op 0
		.amdhsa_exception_fp_denorm_src 0
		.amdhsa_exception_fp_ieee_div_zero 0
		.amdhsa_exception_fp_ieee_overflow 0
		.amdhsa_exception_fp_ieee_underflow 0
		.amdhsa_exception_fp_ieee_inexact 0
		.amdhsa_exception_int_div_zero 0
	.end_amdhsa_kernel
	.section	.text._Z13kernel_simpleIfZL23CATCH2_INTERNAL_TEST_45vEUlvE1_EvT0_PT_,"axG",@progbits,_Z13kernel_simpleIfZL23CATCH2_INTERNAL_TEST_45vEUlvE1_EvT0_PT_,comdat
.Lfunc_end3:
	.size	_Z13kernel_simpleIfZL23CATCH2_INTERNAL_TEST_45vEUlvE1_EvT0_PT_, .Lfunc_end3-_Z13kernel_simpleIfZL23CATCH2_INTERNAL_TEST_45vEUlvE1_EvT0_PT_
                                        ; -- End function
	.section	.AMDGPU.csdata,"",@progbits
; Kernel info:
; codeLenInByte = 40
; NumSgprs: 2
; NumVgprs: 2
; ScratchSize: 0
; MemoryBound: 0
; FloatMode: 240
; IeeeMode: 1
; LDSByteSize: 0 bytes/workgroup (compile time only)
; SGPRBlocks: 0
; VGPRBlocks: 0
; NumSGPRsForWavesPerEU: 2
; NumVGPRsForWavesPerEU: 2
; Occupancy: 16
; WaveLimiterHint : 0
; COMPUTE_PGM_RSRC2:SCRATCH_EN: 0
; COMPUTE_PGM_RSRC2:USER_SGPR: 15
; COMPUTE_PGM_RSRC2:TRAP_HANDLER: 0
; COMPUTE_PGM_RSRC2:TGID_X_EN: 1
; COMPUTE_PGM_RSRC2:TGID_Y_EN: 0
; COMPUTE_PGM_RSRC2:TGID_Z_EN: 0
; COMPUTE_PGM_RSRC2:TIDIG_COMP_CNT: 0
	.section	.text._Z13kernel_simpleIdZL23CATCH2_INTERNAL_TEST_45vEUlvE2_EvT0_PT_,"axG",@progbits,_Z13kernel_simpleIdZL23CATCH2_INTERNAL_TEST_45vEUlvE2_EvT0_PT_,comdat
	.globl	_Z13kernel_simpleIdZL23CATCH2_INTERNAL_TEST_45vEUlvE2_EvT0_PT_ ; -- Begin function _Z13kernel_simpleIdZL23CATCH2_INTERNAL_TEST_45vEUlvE2_EvT0_PT_
	.p2align	8
	.type	_Z13kernel_simpleIdZL23CATCH2_INTERNAL_TEST_45vEUlvE2_EvT0_PT_,@function
_Z13kernel_simpleIdZL23CATCH2_INTERNAL_TEST_45vEUlvE2_EvT0_PT_: ; @_Z13kernel_simpleIdZL23CATCH2_INTERNAL_TEST_45vEUlvE2_EvT0_PT_
; %bb.0:
	s_load_b64 s[0:1], s[0:1], 0x8
	v_dual_mov_b32 v0, 0 :: v_dual_mov_b32 v1, 0x40100000
	s_waitcnt lgkmcnt(0)
	global_store_b64 v0, v[0:1], s[0:1]
	s_nop 0
	s_sendmsg sendmsg(MSG_DEALLOC_VGPRS)
	s_endpgm
	.section	.rodata,"a",@progbits
	.p2align	6, 0x0
	.amdhsa_kernel _Z13kernel_simpleIdZL23CATCH2_INTERNAL_TEST_45vEUlvE2_EvT0_PT_
		.amdhsa_group_segment_fixed_size 0
		.amdhsa_private_segment_fixed_size 0
		.amdhsa_kernarg_size 16
		.amdhsa_user_sgpr_count 15
		.amdhsa_user_sgpr_dispatch_ptr 0
		.amdhsa_user_sgpr_queue_ptr 0
		.amdhsa_user_sgpr_kernarg_segment_ptr 1
		.amdhsa_user_sgpr_dispatch_id 0
		.amdhsa_user_sgpr_private_segment_size 0
		.amdhsa_wavefront_size32 1
		.amdhsa_uses_dynamic_stack 0
		.amdhsa_enable_private_segment 0
		.amdhsa_system_sgpr_workgroup_id_x 1
		.amdhsa_system_sgpr_workgroup_id_y 0
		.amdhsa_system_sgpr_workgroup_id_z 0
		.amdhsa_system_sgpr_workgroup_info 0
		.amdhsa_system_vgpr_workitem_id 0
		.amdhsa_next_free_vgpr 2
		.amdhsa_next_free_sgpr 2
		.amdhsa_reserve_vcc 0
		.amdhsa_float_round_mode_32 0
		.amdhsa_float_round_mode_16_64 0
		.amdhsa_float_denorm_mode_32 3
		.amdhsa_float_denorm_mode_16_64 3
		.amdhsa_dx10_clamp 1
		.amdhsa_ieee_mode 1
		.amdhsa_fp16_overflow 0
		.amdhsa_workgroup_processor_mode 1
		.amdhsa_memory_ordered 1
		.amdhsa_forward_progress 0
		.amdhsa_shared_vgpr_count 0
		.amdhsa_exception_fp_ieee_invalid_op 0
		.amdhsa_exception_fp_denorm_src 0
		.amdhsa_exception_fp_ieee_div_zero 0
		.amdhsa_exception_fp_ieee_overflow 0
		.amdhsa_exception_fp_ieee_underflow 0
		.amdhsa_exception_fp_ieee_inexact 0
		.amdhsa_exception_int_div_zero 0
	.end_amdhsa_kernel
	.section	.text._Z13kernel_simpleIdZL23CATCH2_INTERNAL_TEST_45vEUlvE2_EvT0_PT_,"axG",@progbits,_Z13kernel_simpleIdZL23CATCH2_INTERNAL_TEST_45vEUlvE2_EvT0_PT_,comdat
.Lfunc_end4:
	.size	_Z13kernel_simpleIdZL23CATCH2_INTERNAL_TEST_45vEUlvE2_EvT0_PT_, .Lfunc_end4-_Z13kernel_simpleIdZL23CATCH2_INTERNAL_TEST_45vEUlvE2_EvT0_PT_
                                        ; -- End function
	.section	.AMDGPU.csdata,"",@progbits
; Kernel info:
; codeLenInByte = 44
; NumSgprs: 2
; NumVgprs: 2
; ScratchSize: 0
; MemoryBound: 0
; FloatMode: 240
; IeeeMode: 1
; LDSByteSize: 0 bytes/workgroup (compile time only)
; SGPRBlocks: 0
; VGPRBlocks: 0
; NumSGPRsForWavesPerEU: 2
; NumVGPRsForWavesPerEU: 2
; Occupancy: 16
; WaveLimiterHint : 0
; COMPUTE_PGM_RSRC2:SCRATCH_EN: 0
; COMPUTE_PGM_RSRC2:USER_SGPR: 15
; COMPUTE_PGM_RSRC2:TRAP_HANDLER: 0
; COMPUTE_PGM_RSRC2:TGID_X_EN: 1
; COMPUTE_PGM_RSRC2:TGID_Y_EN: 0
; COMPUTE_PGM_RSRC2:TGID_Z_EN: 0
; COMPUTE_PGM_RSRC2:TIDIG_COMP_CNT: 0
	.section	.text._Z13kernel_simpleIDF16_ZL23CATCH2_INTERNAL_TEST_45vEUlvE3_EvT0_PT_,"axG",@progbits,_Z13kernel_simpleIDF16_ZL23CATCH2_INTERNAL_TEST_45vEUlvE3_EvT0_PT_,comdat
	.globl	_Z13kernel_simpleIDF16_ZL23CATCH2_INTERNAL_TEST_45vEUlvE3_EvT0_PT_ ; -- Begin function _Z13kernel_simpleIDF16_ZL23CATCH2_INTERNAL_TEST_45vEUlvE3_EvT0_PT_
	.p2align	8
	.type	_Z13kernel_simpleIDF16_ZL23CATCH2_INTERNAL_TEST_45vEUlvE3_EvT0_PT_,@function
_Z13kernel_simpleIDF16_ZL23CATCH2_INTERNAL_TEST_45vEUlvE3_EvT0_PT_: ; @_Z13kernel_simpleIDF16_ZL23CATCH2_INTERNAL_TEST_45vEUlvE3_EvT0_PT_
; %bb.0:
	v_log_f32_e32 v0, 2.0
	s_load_b64 s[0:1], s[0:1], 0x8
	s_waitcnt_depctr 0xfff
	v_dual_mov_b32 v1, 0 :: v_dual_add_f32 v0, v0, v0
	s_delay_alu instid0(VALU_DEP_1) | instskip(SKIP_2) | instid1(VALU_DEP_1)
	v_exp_f32_e32 v0, v0
	s_waitcnt_depctr 0xfff
	v_cvt_f16_f32_e32 v0, v0
	v_and_b32_e32 v0, 0x7fff, v0
	s_waitcnt lgkmcnt(0)
	global_store_b16 v1, v0, s[0:1]
	s_nop 0
	s_sendmsg sendmsg(MSG_DEALLOC_VGPRS)
	s_endpgm
	.section	.rodata,"a",@progbits
	.p2align	6, 0x0
	.amdhsa_kernel _Z13kernel_simpleIDF16_ZL23CATCH2_INTERNAL_TEST_45vEUlvE3_EvT0_PT_
		.amdhsa_group_segment_fixed_size 0
		.amdhsa_private_segment_fixed_size 0
		.amdhsa_kernarg_size 16
		.amdhsa_user_sgpr_count 15
		.amdhsa_user_sgpr_dispatch_ptr 0
		.amdhsa_user_sgpr_queue_ptr 0
		.amdhsa_user_sgpr_kernarg_segment_ptr 1
		.amdhsa_user_sgpr_dispatch_id 0
		.amdhsa_user_sgpr_private_segment_size 0
		.amdhsa_wavefront_size32 1
		.amdhsa_uses_dynamic_stack 0
		.amdhsa_enable_private_segment 0
		.amdhsa_system_sgpr_workgroup_id_x 1
		.amdhsa_system_sgpr_workgroup_id_y 0
		.amdhsa_system_sgpr_workgroup_id_z 0
		.amdhsa_system_sgpr_workgroup_info 0
		.amdhsa_system_vgpr_workitem_id 0
		.amdhsa_next_free_vgpr 2
		.amdhsa_next_free_sgpr 2
		.amdhsa_reserve_vcc 0
		.amdhsa_float_round_mode_32 0
		.amdhsa_float_round_mode_16_64 0
		.amdhsa_float_denorm_mode_32 3
		.amdhsa_float_denorm_mode_16_64 3
		.amdhsa_dx10_clamp 1
		.amdhsa_ieee_mode 1
		.amdhsa_fp16_overflow 0
		.amdhsa_workgroup_processor_mode 1
		.amdhsa_memory_ordered 1
		.amdhsa_forward_progress 0
		.amdhsa_shared_vgpr_count 0
		.amdhsa_exception_fp_ieee_invalid_op 0
		.amdhsa_exception_fp_denorm_src 0
		.amdhsa_exception_fp_ieee_div_zero 0
		.amdhsa_exception_fp_ieee_overflow 0
		.amdhsa_exception_fp_ieee_underflow 0
		.amdhsa_exception_fp_ieee_inexact 0
		.amdhsa_exception_int_div_zero 0
	.end_amdhsa_kernel
	.section	.text._Z13kernel_simpleIDF16_ZL23CATCH2_INTERNAL_TEST_45vEUlvE3_EvT0_PT_,"axG",@progbits,_Z13kernel_simpleIDF16_ZL23CATCH2_INTERNAL_TEST_45vEUlvE3_EvT0_PT_,comdat
.Lfunc_end5:
	.size	_Z13kernel_simpleIDF16_ZL23CATCH2_INTERNAL_TEST_45vEUlvE3_EvT0_PT_, .Lfunc_end5-_Z13kernel_simpleIDF16_ZL23CATCH2_INTERNAL_TEST_45vEUlvE3_EvT0_PT_
                                        ; -- End function
	.section	.AMDGPU.csdata,"",@progbits
; Kernel info:
; codeLenInByte = 72
; NumSgprs: 2
; NumVgprs: 2
; ScratchSize: 0
; MemoryBound: 0
; FloatMode: 240
; IeeeMode: 1
; LDSByteSize: 0 bytes/workgroup (compile time only)
; SGPRBlocks: 0
; VGPRBlocks: 0
; NumSGPRsForWavesPerEU: 2
; NumVGPRsForWavesPerEU: 2
; Occupancy: 16
; WaveLimiterHint : 0
; COMPUTE_PGM_RSRC2:SCRATCH_EN: 0
; COMPUTE_PGM_RSRC2:USER_SGPR: 15
; COMPUTE_PGM_RSRC2:TRAP_HANDLER: 0
; COMPUTE_PGM_RSRC2:TGID_X_EN: 1
; COMPUTE_PGM_RSRC2:TGID_Y_EN: 0
; COMPUTE_PGM_RSRC2:TGID_Z_EN: 0
; COMPUTE_PGM_RSRC2:TIDIG_COMP_CNT: 0
	.text
	.p2alignl 7, 3214868480
	.fill 96, 4, 3214868480
	.type	__hip_cuid_e86dc20fefdd24b,@object ; @__hip_cuid_e86dc20fefdd24b
	.section	.bss,"aw",@nobits
	.globl	__hip_cuid_e86dc20fefdd24b
__hip_cuid_e86dc20fefdd24b:
	.byte	0                               ; 0x0
	.size	__hip_cuid_e86dc20fefdd24b, 1

	.ident	"AMD clang version 19.0.0git (https://github.com/RadeonOpenCompute/llvm-project roc-6.4.0 25133 c7fe45cf4b819c5991fe208aaa96edf142730f1d)"
	.section	".note.GNU-stack","",@progbits
	.addrsig
	.addrsig_sym __hip_cuid_e86dc20fefdd24b
	.amdgpu_metadata
---
amdhsa.kernels:
  - .args:
      - .address_space:  global
        .offset:         0
        .size:           8
        .value_kind:     global_buffer
      - .address_space:  global
        .offset:         8
        .size:           8
        .value_kind:     global_buffer
    .group_segment_fixed_size: 0
    .kernarg_segment_align: 8
    .kernarg_segment_size: 16
    .language:       OpenCL C
    .language_version:
      - 2
      - 0
    .max_flat_workgroup_size: 1024
    .name:           _Z16kernel_abs_int64PxS_
    .private_segment_fixed_size: 0
    .sgpr_count:     6
    .sgpr_spill_count: 0
    .symbol:         _Z16kernel_abs_int64PxS_.kd
    .uniform_work_group_size: 1
    .uses_dynamic_stack: false
    .vgpr_count:     4
    .vgpr_spill_count: 0
    .wavefront_size: 32
    .workgroup_processor_mode: 1
  - .args:
      - .offset:         0
        .size:           1
        .value_kind:     by_value
      - .address_space:  global
        .offset:         8
        .size:           8
        .value_kind:     global_buffer
    .group_segment_fixed_size: 0
    .kernarg_segment_align: 8
    .kernarg_segment_size: 16
    .language:       OpenCL C
    .language_version:
      - 2
      - 0
    .max_flat_workgroup_size: 1024
    .name:           _Z13kernel_simpleIfZL23CATCH2_INTERNAL_TEST_45vEUlvE_EvT0_PT_
    .private_segment_fixed_size: 0
    .sgpr_count:     2
    .sgpr_spill_count: 0
    .symbol:         _Z13kernel_simpleIfZL23CATCH2_INTERNAL_TEST_45vEUlvE_EvT0_PT_.kd
    .uniform_work_group_size: 1
    .uses_dynamic_stack: false
    .vgpr_count:     2
    .vgpr_spill_count: 0
    .wavefront_size: 32
    .workgroup_processor_mode: 1
  - .args:
      - .offset:         0
        .size:           1
        .value_kind:     by_value
      - .address_space:  global
        .offset:         8
        .size:           8
        .value_kind:     global_buffer
    .group_segment_fixed_size: 0
    .kernarg_segment_align: 8
    .kernarg_segment_size: 16
    .language:       OpenCL C
    .language_version:
      - 2
      - 0
    .max_flat_workgroup_size: 1024
    .name:           _Z13kernel_simpleIdZL23CATCH2_INTERNAL_TEST_45vEUlvE0_EvT0_PT_
    .private_segment_fixed_size: 0
    .sgpr_count:     2
    .sgpr_spill_count: 0
    .symbol:         _Z13kernel_simpleIdZL23CATCH2_INTERNAL_TEST_45vEUlvE0_EvT0_PT_.kd
    .uniform_work_group_size: 1
    .uses_dynamic_stack: false
    .vgpr_count:     2
    .vgpr_spill_count: 0
    .wavefront_size: 32
    .workgroup_processor_mode: 1
  - .args:
      - .offset:         0
        .size:           1
        .value_kind:     by_value
      - .address_space:  global
        .offset:         8
        .size:           8
        .value_kind:     global_buffer
    .group_segment_fixed_size: 0
    .kernarg_segment_align: 8
    .kernarg_segment_size: 16
    .language:       OpenCL C
    .language_version:
      - 2
      - 0
    .max_flat_workgroup_size: 1024
    .name:           _Z13kernel_simpleIfZL23CATCH2_INTERNAL_TEST_45vEUlvE1_EvT0_PT_
    .private_segment_fixed_size: 0
    .sgpr_count:     2
    .sgpr_spill_count: 0
    .symbol:         _Z13kernel_simpleIfZL23CATCH2_INTERNAL_TEST_45vEUlvE1_EvT0_PT_.kd
    .uniform_work_group_size: 1
    .uses_dynamic_stack: false
    .vgpr_count:     2
    .vgpr_spill_count: 0
    .wavefront_size: 32
    .workgroup_processor_mode: 1
  - .args:
      - .offset:         0
        .size:           1
        .value_kind:     by_value
      - .address_space:  global
        .offset:         8
        .size:           8
        .value_kind:     global_buffer
    .group_segment_fixed_size: 0
    .kernarg_segment_align: 8
    .kernarg_segment_size: 16
    .language:       OpenCL C
    .language_version:
      - 2
      - 0
    .max_flat_workgroup_size: 1024
    .name:           _Z13kernel_simpleIdZL23CATCH2_INTERNAL_TEST_45vEUlvE2_EvT0_PT_
    .private_segment_fixed_size: 0
    .sgpr_count:     2
    .sgpr_spill_count: 0
    .symbol:         _Z13kernel_simpleIdZL23CATCH2_INTERNAL_TEST_45vEUlvE2_EvT0_PT_.kd
    .uniform_work_group_size: 1
    .uses_dynamic_stack: false
    .vgpr_count:     2
    .vgpr_spill_count: 0
    .wavefront_size: 32
    .workgroup_processor_mode: 1
  - .args:
      - .offset:         0
        .size:           1
        .value_kind:     by_value
      - .address_space:  global
        .offset:         8
        .size:           8
        .value_kind:     global_buffer
    .group_segment_fixed_size: 0
    .kernarg_segment_align: 8
    .kernarg_segment_size: 16
    .language:       OpenCL C
    .language_version:
      - 2
      - 0
    .max_flat_workgroup_size: 1024
    .name:           _Z13kernel_simpleIDF16_ZL23CATCH2_INTERNAL_TEST_45vEUlvE3_EvT0_PT_
    .private_segment_fixed_size: 0
    .sgpr_count:     2
    .sgpr_spill_count: 0
    .symbol:         _Z13kernel_simpleIDF16_ZL23CATCH2_INTERNAL_TEST_45vEUlvE3_EvT0_PT_.kd
    .uniform_work_group_size: 1
    .uses_dynamic_stack: false
    .vgpr_count:     2
    .vgpr_spill_count: 0
    .wavefront_size: 32
    .workgroup_processor_mode: 1
amdhsa.target:   amdgcn-amd-amdhsa--gfx1100
amdhsa.version:
  - 1
  - 2
...

	.end_amdgpu_metadata
